;; amdgpu-corpus repo=ROCm/rocFFT kind=compiled arch=gfx906 opt=O3
	.text
	.amdgcn_target "amdgcn-amd-amdhsa--gfx906"
	.amdhsa_code_object_version 6
	.protected	fft_rtc_back_len196_factors_4_7_7_wgs_56_tpt_28_half_ip_CI_unitstride_sbrr_R2C_dirReg ; -- Begin function fft_rtc_back_len196_factors_4_7_7_wgs_56_tpt_28_half_ip_CI_unitstride_sbrr_R2C_dirReg
	.globl	fft_rtc_back_len196_factors_4_7_7_wgs_56_tpt_28_half_ip_CI_unitstride_sbrr_R2C_dirReg
	.p2align	8
	.type	fft_rtc_back_len196_factors_4_7_7_wgs_56_tpt_28_half_ip_CI_unitstride_sbrr_R2C_dirReg,@function
fft_rtc_back_len196_factors_4_7_7_wgs_56_tpt_28_half_ip_CI_unitstride_sbrr_R2C_dirReg: ; @fft_rtc_back_len196_factors_4_7_7_wgs_56_tpt_28_half_ip_CI_unitstride_sbrr_R2C_dirReg
; %bb.0:
	s_load_dwordx2 s[12:13], s[4:5], 0x50
	s_load_dwordx4 s[8:11], s[4:5], 0x0
	s_load_dwordx2 s[2:3], s[4:5], 0x18
	v_mul_u32_u24_e32 v1, 0x925, v0
	v_lshrrev_b32_e32 v9, 16, v1
	v_mov_b32_e32 v3, 0
	s_waitcnt lgkmcnt(0)
	v_cmp_lt_u64_e64 s[0:1], s[10:11], 2
	v_mov_b32_e32 v1, 0
	v_lshl_add_u32 v5, s6, 1, v9
	v_mov_b32_e32 v6, v3
	s_and_b64 vcc, exec, s[0:1]
	v_mov_b32_e32 v2, 0
	s_cbranch_vccnz .LBB0_8
; %bb.1:
	s_load_dwordx2 s[0:1], s[4:5], 0x10
	s_add_u32 s6, s2, 8
	s_addc_u32 s7, s3, 0
	v_mov_b32_e32 v1, 0
	v_mov_b32_e32 v2, 0
	s_waitcnt lgkmcnt(0)
	s_add_u32 s14, s0, 8
	s_addc_u32 s15, s1, 0
	s_mov_b64 s[16:17], 1
.LBB0_2:                                ; =>This Inner Loop Header: Depth=1
	s_load_dwordx2 s[18:19], s[14:15], 0x0
                                        ; implicit-def: $vgpr7_vgpr8
	s_waitcnt lgkmcnt(0)
	v_or_b32_e32 v4, s19, v6
	v_cmp_ne_u64_e32 vcc, 0, v[3:4]
	s_and_saveexec_b64 s[0:1], vcc
	s_xor_b64 s[20:21], exec, s[0:1]
	s_cbranch_execz .LBB0_4
; %bb.3:                                ;   in Loop: Header=BB0_2 Depth=1
	v_cvt_f32_u32_e32 v4, s18
	v_cvt_f32_u32_e32 v7, s19
	s_sub_u32 s0, 0, s18
	s_subb_u32 s1, 0, s19
	v_mac_f32_e32 v4, 0x4f800000, v7
	v_rcp_f32_e32 v4, v4
	v_mul_f32_e32 v4, 0x5f7ffffc, v4
	v_mul_f32_e32 v7, 0x2f800000, v4
	v_trunc_f32_e32 v7, v7
	v_mac_f32_e32 v4, 0xcf800000, v7
	v_cvt_u32_f32_e32 v7, v7
	v_cvt_u32_f32_e32 v4, v4
	v_mul_lo_u32 v8, s0, v7
	v_mul_hi_u32 v10, s0, v4
	v_mul_lo_u32 v12, s1, v4
	v_mul_lo_u32 v11, s0, v4
	v_add_u32_e32 v8, v10, v8
	v_add_u32_e32 v8, v8, v12
	v_mul_hi_u32 v10, v4, v11
	v_mul_lo_u32 v12, v4, v8
	v_mul_hi_u32 v14, v4, v8
	v_mul_hi_u32 v13, v7, v11
	v_mul_lo_u32 v11, v7, v11
	v_mul_hi_u32 v15, v7, v8
	v_add_co_u32_e32 v10, vcc, v10, v12
	v_addc_co_u32_e32 v12, vcc, 0, v14, vcc
	v_mul_lo_u32 v8, v7, v8
	v_add_co_u32_e32 v10, vcc, v10, v11
	v_addc_co_u32_e32 v10, vcc, v12, v13, vcc
	v_addc_co_u32_e32 v11, vcc, 0, v15, vcc
	v_add_co_u32_e32 v8, vcc, v10, v8
	v_addc_co_u32_e32 v10, vcc, 0, v11, vcc
	v_add_co_u32_e32 v4, vcc, v4, v8
	v_addc_co_u32_e32 v7, vcc, v7, v10, vcc
	v_mul_lo_u32 v8, s0, v7
	v_mul_hi_u32 v10, s0, v4
	v_mul_lo_u32 v11, s1, v4
	v_mul_lo_u32 v12, s0, v4
	v_add_u32_e32 v8, v10, v8
	v_add_u32_e32 v8, v8, v11
	v_mul_lo_u32 v13, v4, v8
	v_mul_hi_u32 v14, v4, v12
	v_mul_hi_u32 v15, v4, v8
	;; [unrolled: 1-line block ×3, first 2 shown]
	v_mul_lo_u32 v12, v7, v12
	v_mul_hi_u32 v10, v7, v8
	v_add_co_u32_e32 v13, vcc, v14, v13
	v_addc_co_u32_e32 v14, vcc, 0, v15, vcc
	v_mul_lo_u32 v8, v7, v8
	v_add_co_u32_e32 v12, vcc, v13, v12
	v_addc_co_u32_e32 v11, vcc, v14, v11, vcc
	v_addc_co_u32_e32 v10, vcc, 0, v10, vcc
	v_add_co_u32_e32 v8, vcc, v11, v8
	v_addc_co_u32_e32 v10, vcc, 0, v10, vcc
	v_add_co_u32_e32 v4, vcc, v4, v8
	v_addc_co_u32_e32 v10, vcc, v7, v10, vcc
	v_mad_u64_u32 v[7:8], s[0:1], v5, v10, 0
	v_mul_hi_u32 v11, v5, v4
	v_add_co_u32_e32 v12, vcc, v11, v7
	v_addc_co_u32_e32 v13, vcc, 0, v8, vcc
	v_mad_u64_u32 v[7:8], s[0:1], v6, v4, 0
	v_mad_u64_u32 v[10:11], s[0:1], v6, v10, 0
	v_add_co_u32_e32 v4, vcc, v12, v7
	v_addc_co_u32_e32 v4, vcc, v13, v8, vcc
	v_addc_co_u32_e32 v7, vcc, 0, v11, vcc
	v_add_co_u32_e32 v4, vcc, v4, v10
	v_addc_co_u32_e32 v10, vcc, 0, v7, vcc
	v_mul_lo_u32 v11, s19, v4
	v_mul_lo_u32 v12, s18, v10
	v_mad_u64_u32 v[7:8], s[0:1], s18, v4, 0
	v_add3_u32 v8, v8, v12, v11
	v_sub_u32_e32 v11, v6, v8
	v_mov_b32_e32 v12, s19
	v_sub_co_u32_e32 v7, vcc, v5, v7
	v_subb_co_u32_e64 v11, s[0:1], v11, v12, vcc
	v_subrev_co_u32_e64 v12, s[0:1], s18, v7
	v_subbrev_co_u32_e64 v11, s[0:1], 0, v11, s[0:1]
	v_cmp_le_u32_e64 s[0:1], s19, v11
	v_cndmask_b32_e64 v13, 0, -1, s[0:1]
	v_cmp_le_u32_e64 s[0:1], s18, v12
	v_cndmask_b32_e64 v12, 0, -1, s[0:1]
	v_cmp_eq_u32_e64 s[0:1], s19, v11
	v_cndmask_b32_e64 v11, v13, v12, s[0:1]
	v_add_co_u32_e64 v12, s[0:1], 2, v4
	v_addc_co_u32_e64 v13, s[0:1], 0, v10, s[0:1]
	v_add_co_u32_e64 v14, s[0:1], 1, v4
	v_addc_co_u32_e64 v15, s[0:1], 0, v10, s[0:1]
	v_subb_co_u32_e32 v8, vcc, v6, v8, vcc
	v_cmp_ne_u32_e64 s[0:1], 0, v11
	v_cmp_le_u32_e32 vcc, s19, v8
	v_cndmask_b32_e64 v11, v15, v13, s[0:1]
	v_cndmask_b32_e64 v13, 0, -1, vcc
	v_cmp_le_u32_e32 vcc, s18, v7
	v_cndmask_b32_e64 v7, 0, -1, vcc
	v_cmp_eq_u32_e32 vcc, s19, v8
	v_cndmask_b32_e32 v7, v13, v7, vcc
	v_cmp_ne_u32_e32 vcc, 0, v7
	v_cndmask_b32_e64 v7, v14, v12, s[0:1]
	v_cndmask_b32_e32 v8, v10, v11, vcc
	v_cndmask_b32_e32 v7, v4, v7, vcc
.LBB0_4:                                ;   in Loop: Header=BB0_2 Depth=1
	s_andn2_saveexec_b64 s[0:1], s[20:21]
	s_cbranch_execz .LBB0_6
; %bb.5:                                ;   in Loop: Header=BB0_2 Depth=1
	v_cvt_f32_u32_e32 v4, s18
	s_sub_i32 s20, 0, s18
	v_rcp_iflag_f32_e32 v4, v4
	v_mul_f32_e32 v4, 0x4f7ffffe, v4
	v_cvt_u32_f32_e32 v4, v4
	v_mul_lo_u32 v7, s20, v4
	v_mul_hi_u32 v7, v4, v7
	v_add_u32_e32 v4, v4, v7
	v_mul_hi_u32 v4, v5, v4
	v_mul_lo_u32 v7, v4, s18
	v_add_u32_e32 v8, 1, v4
	v_sub_u32_e32 v7, v5, v7
	v_subrev_u32_e32 v10, s18, v7
	v_cmp_le_u32_e32 vcc, s18, v7
	v_cndmask_b32_e32 v7, v7, v10, vcc
	v_cndmask_b32_e32 v4, v4, v8, vcc
	v_add_u32_e32 v8, 1, v4
	v_cmp_le_u32_e32 vcc, s18, v7
	v_cndmask_b32_e32 v7, v4, v8, vcc
	v_mov_b32_e32 v8, v3
.LBB0_6:                                ;   in Loop: Header=BB0_2 Depth=1
	s_or_b64 exec, exec, s[0:1]
	v_mul_lo_u32 v4, v8, s18
	v_mul_lo_u32 v12, v7, s19
	v_mad_u64_u32 v[10:11], s[0:1], v7, s18, 0
	s_load_dwordx2 s[0:1], s[6:7], 0x0
	s_add_u32 s16, s16, 1
	v_add3_u32 v4, v11, v12, v4
	v_sub_co_u32_e32 v5, vcc, v5, v10
	v_subb_co_u32_e32 v4, vcc, v6, v4, vcc
	s_waitcnt lgkmcnt(0)
	v_mul_lo_u32 v4, s0, v4
	v_mul_lo_u32 v6, s1, v5
	v_mad_u64_u32 v[1:2], s[0:1], s0, v5, v[1:2]
	s_addc_u32 s17, s17, 0
	s_add_u32 s6, s6, 8
	v_add3_u32 v2, v6, v2, v4
	v_mov_b32_e32 v4, s10
	v_mov_b32_e32 v5, s11
	s_addc_u32 s7, s7, 0
	v_cmp_ge_u64_e32 vcc, s[16:17], v[4:5]
	s_add_u32 s14, s14, 8
	s_addc_u32 s15, s15, 0
	s_cbranch_vccnz .LBB0_9
; %bb.7:                                ;   in Loop: Header=BB0_2 Depth=1
	v_mov_b32_e32 v5, v7
	v_mov_b32_e32 v6, v8
	s_branch .LBB0_2
.LBB0_8:
	v_mov_b32_e32 v8, v6
	v_mov_b32_e32 v7, v5
.LBB0_9:
	s_lshl_b64 s[0:1], s[10:11], 3
	s_add_u32 s0, s2, s0
	s_addc_u32 s1, s3, s1
	s_load_dwordx2 s[2:3], s[0:1], 0x0
	s_load_dwordx2 s[6:7], s[4:5], 0x20
	v_and_b32_e32 v5, 1, v9
	s_waitcnt lgkmcnt(0)
	v_mul_lo_u32 v3, s2, v8
	v_mul_lo_u32 v4, s3, v7
	v_mad_u64_u32 v[1:2], s[0:1], s2, v7, v[1:2]
	s_mov_b32 s2, 0x924924a
	v_cmp_gt_u64_e32 vcc, s[6:7], v[7:8]
	v_add3_u32 v2, v4, v2, v3
	v_mul_hi_u32 v4, v0, s2
	v_cmp_le_u64_e64 s[2:3], s[6:7], v[7:8]
	v_cmp_eq_u32_e64 s[0:1], 1, v5
	v_mov_b32_e32 v3, 0xc5
	v_mul_u32_u24_e32 v4, 28, v4
	v_sub_u32_e32 v0, v0, v4
	v_add_u32_e32 v4, 28, v0
	s_and_saveexec_b64 s[4:5], s[2:3]
	s_xor_b64 s[2:3], exec, s[4:5]
; %bb.10:
	v_add_u32_e32 v4, 28, v0
; %bb.11:
	s_or_saveexec_b64 s[2:3], s[2:3]
	v_cndmask_b32_e64 v5, 0, v3, s[0:1]
	v_lshlrev_b64 v[2:3], 2, v[1:2]
	v_lshlrev_b32_e32 v14, 2, v5
	v_lshlrev_b32_e32 v13, 2, v0
	s_xor_b64 exec, exec, s[2:3]
	s_cbranch_execz .LBB0_13
; %bb.12:
	v_mov_b32_e32 v1, 0
	v_mov_b32_e32 v5, s13
	v_add_co_u32_e64 v7, s[0:1], s12, v2
	v_addc_co_u32_e64 v8, s[0:1], v5, v3, s[0:1]
	v_lshlrev_b64 v[5:6], 2, v[0:1]
	v_add_co_u32_e64 v5, s[0:1], v7, v5
	v_addc_co_u32_e64 v6, s[0:1], v8, v6, s[0:1]
	global_load_dword v1, v[5:6], off
	global_load_dword v7, v[5:6], off offset:112
	global_load_dword v8, v[5:6], off offset:224
	;; [unrolled: 1-line block ×6, first 2 shown]
	v_add3_u32 v5, 0, v14, v13
	s_waitcnt vmcnt(5)
	ds_write2_b32 v5, v1, v7 offset1:28
	s_waitcnt vmcnt(3)
	ds_write2_b32 v5, v8, v9 offset0:56 offset1:84
	s_waitcnt vmcnt(1)
	ds_write2_b32 v5, v10, v11 offset0:112 offset1:140
	s_waitcnt vmcnt(0)
	ds_write_b32 v5, v12 offset:672
.LBB0_13:
	s_or_b64 exec, exec, s[2:3]
	v_add_u32_e32 v12, 0, v14
	v_add3_u32 v1, 0, v13, v14
	s_waitcnt lgkmcnt(0)
	; wave barrier
	s_waitcnt lgkmcnt(0)
	v_add_u32_e32 v11, v12, v13
	ds_read2_b32 v[5:6], v1 offset0:28 offset1:49
	ds_read2_b32 v[7:8], v1 offset0:77 offset1:98
	ds_read_b32 v16, v11
	ds_read2_b32 v[9:10], v1 offset0:126 offset1:147
	ds_read_b32 v15, v1 offset:700
	s_mov_b32 s0, 0xffff
	s_waitcnt lgkmcnt(0)
	v_pk_add_f16 v8, v16, v8 neg_lo:[0,1] neg_hi:[0,1]
	v_pk_add_f16 v10, v6, v10 neg_lo:[0,1] neg_hi:[0,1]
	v_pk_fma_f16 v16, v16, 2.0, v8 op_sel_hi:[1,0,1] neg_lo:[0,0,1] neg_hi:[0,0,1]
	v_pk_fma_f16 v6, v6, 2.0, v10 op_sel_hi:[1,0,1] neg_lo:[0,0,1] neg_hi:[0,0,1]
	v_pk_add_f16 v17, v8, v10 op_sel:[0,1] op_sel_hi:[1,0]
	v_pk_add_f16 v18, v8, v10 op_sel:[0,1] op_sel_hi:[1,0] neg_lo:[0,1] neg_hi:[0,1]
	v_pk_add_f16 v6, v16, v6 neg_lo:[0,1] neg_hi:[0,1]
	v_bfi_b32 v17, s0, v17, v18
	v_lshrrev_b32_e32 v10, 16, v16
	v_lshrrev_b32_e32 v18, 16, v6
	v_fma_f16 v10, v10, 2.0, -v18
	v_mad_u32_u24 v18, v0, 12, v1
	v_pk_fma_f16 v8, v8, 2.0, v17 op_sel_hi:[1,0,1] neg_lo:[0,0,1] neg_hi:[0,0,1]
	v_fma_f16 v16, v16, 2.0, -v6
	v_lshlrev_b32_e32 v10, 16, v10
	v_cmp_gt_u32_e64 s[0:1], 21, v0
	; wave barrier
	v_or_b32_sdwa v10, v10, v16 dst_sel:DWORD dst_unused:UNUSED_PAD src0_sel:DWORD src1_sel:WORD_0
	ds_write2_b32 v18, v8, v6 offset0:1 offset1:2
	ds_write2_b32 v18, v10, v17 offset1:3
	s_and_saveexec_b64 s[2:3], s[0:1]
	s_cbranch_execz .LBB0_15
; %bb.14:
	v_pk_add_f16 v8, v7, v15 neg_lo:[0,1] neg_hi:[0,1]
	v_pk_add_f16 v6, v5, v9 neg_lo:[0,1] neg_hi:[0,1]
	v_alignbit_b32 v9, s0, v8, 16
	v_pk_add_f16 v9, v6, v9
	v_alignbit_b32 v16, s0, v6, 16
	v_fma_f16 v10, v6, 2.0, -v9
	v_lshrrev_b32_e32 v15, 16, v6
	v_pk_add_f16 v16, v16, v8 neg_lo:[0,1] neg_hi:[0,1]
	v_pk_fma_f16 v5, v5, 2.0, v6 op_sel_hi:[1,0,1] neg_lo:[0,0,1] neg_hi:[0,0,1]
	v_pk_fma_f16 v6, v7, 2.0, v8 op_sel_hi:[1,0,1] neg_lo:[0,0,1] neg_hi:[0,0,1]
	v_fma_f16 v15, v15, 2.0, -v16
	v_lshlrev_b32_e32 v17, 4, v4
	v_pk_add_f16 v6, v5, v6 neg_lo:[0,1] neg_hi:[0,1]
	v_add3_u32 v17, 0, v17, v14
	v_pk_fma_f16 v5, v5, 2.0, v6 op_sel_hi:[1,0,1] neg_lo:[0,0,1] neg_hi:[0,0,1]
	v_pack_b32_f16 v7, v10, v15
	ds_write2_b32 v17, v5, v7 offset1:1
	v_pack_b32_f16 v5, v9, v16
	ds_write2_b32 v17, v6, v5 offset0:2 offset1:3
.LBB0_15:
	s_or_b64 exec, exec, s[2:3]
	v_and_b32_e32 v19, 3, v0
	v_mul_u32_u24_e32 v5, 6, v19
	v_lshlrev_b32_e32 v15, 2, v5
	s_waitcnt lgkmcnt(0)
	; wave barrier
	s_waitcnt lgkmcnt(0)
	global_load_dwordx4 v[5:8], v15, s[8:9]
	global_load_dwordx2 v[9:10], v15, s[8:9] offset:16
	ds_read2_b32 v[15:16], v1 offset0:56 offset1:84
	v_lshlrev_b32_e32 v20, 2, v4
	ds_read2_b32 v[17:18], v1 offset0:112 offset1:140
	v_lshrrev_b32_e32 v21, 2, v0
	v_add3_u32 v20, 0, v20, v14
	v_mul_u32_u24_e32 v21, 28, v21
	ds_read_b32 v22, v20
	ds_read_b32 v23, v1 offset:672
	ds_read_b32 v24, v11
	v_or_b32_e32 v19, v21, v19
	v_lshlrev_b32_e32 v19, 2, v19
	v_add3_u32 v14, 0, v19, v14
	s_waitcnt lgkmcnt(4)
	v_lshrrev_b32_e32 v19, 16, v15
	v_lshrrev_b32_e32 v21, 16, v16
	s_waitcnt lgkmcnt(2)
	v_lshrrev_b32_e32 v27, 16, v22
	v_lshrrev_b32_e32 v25, 16, v17
	;; [unrolled: 1-line block ×3, first 2 shown]
	s_waitcnt lgkmcnt(1)
	v_lshrrev_b32_e32 v28, 16, v23
	s_mov_b32 s4, 0xbb00
	s_mov_b32 s0, 0xbcab
	s_movk_i32 s2, 0x2b26
	s_mov_b32 s1, 0xb574
	s_movk_i32 s5, 0x3574
	s_movk_i32 s6, 0x39e0
	s_mov_b32 s7, 0xb9e0
	s_mov_b32 s3, 0xb70e
	s_waitcnt lgkmcnt(0)
	; wave barrier
	s_waitcnt vmcnt(1) lgkmcnt(0)
	v_mul_f16_sdwa v29, v6, v19 dst_sel:DWORD dst_unused:UNUSED_PAD src0_sel:WORD_1 src1_sel:DWORD
	v_mul_f16_sdwa v30, v7, v21 dst_sel:DWORD dst_unused:UNUSED_PAD src0_sel:WORD_1 src1_sel:DWORD
	;; [unrolled: 1-line block ×7, first 2 shown]
	v_fma_f16 v15, v6, v15, v29
	v_fma_f16 v16, v7, v16, v30
	v_mul_f16_sdwa v29, v8, v25 dst_sel:DWORD dst_unused:UNUSED_PAD src0_sel:WORD_1 src1_sel:DWORD
	s_waitcnt vmcnt(0)
	v_mul_f16_sdwa v30, v9, v26 dst_sel:DWORD dst_unused:UNUSED_PAD src0_sel:WORD_1 src1_sel:DWORD
	v_fma_f16 v22, v5, v22, v33
	v_mul_f16_sdwa v33, v9, v18 dst_sel:DWORD dst_unused:UNUSED_PAD src0_sel:WORD_1 src1_sel:DWORD
	v_fma_f16 v5, v5, v27, -v34
	v_mul_f16_sdwa v27, v10, v28 dst_sel:DWORD dst_unused:UNUSED_PAD src0_sel:WORD_1 src1_sel:DWORD
	v_fma_f16 v6, v6, v19, -v31
	v_mul_f16_sdwa v19, v10, v23 dst_sel:DWORD dst_unused:UNUSED_PAD src0_sel:WORD_1 src1_sel:DWORD
	v_fma_f16 v7, v7, v21, -v32
	v_fma_f16 v21, v8, v25, -v35
	v_fma_f16 v8, v8, v17, v29
	v_fma_f16 v17, v9, v18, v30
	v_fma_f16 v9, v9, v26, -v33
	v_fma_f16 v18, v10, v23, v27
	v_fma_f16 v10, v10, v28, -v19
	v_add_f16_e32 v19, v22, v18
	v_sub_f16_e32 v18, v22, v18
	v_add_f16_e32 v22, v5, v10
	v_sub_f16_e32 v5, v5, v10
	;; [unrolled: 2-line block ×6, first 2 shown]
	v_add_f16_e32 v21, v10, v19
	v_add_f16_e32 v23, v17, v22
	;; [unrolled: 1-line block ×3, first 2 shown]
	v_sub_f16_e32 v30, v8, v15
	v_sub_f16_e32 v25, v19, v9
	;; [unrolled: 1-line block ×5, first 2 shown]
	v_add_f16_e32 v31, v7, v6
	v_sub_f16_e32 v32, v7, v6
	v_add_f16_e32 v9, v9, v21
	v_add_f16_e32 v16, v16, v23
	;; [unrolled: 1-line block ×3, first 2 shown]
	v_mul_f16_e32 v29, 0x3846, v30
	v_sub_f16_e32 v15, v15, v18
	v_sub_f16_e32 v8, v18, v8
	;; [unrolled: 1-line block ×3, first 2 shown]
	v_add_f16_e32 v23, v31, v5
	v_mul_f16_e32 v25, 0x3a52, v25
	v_mul_f16_e32 v30, 0x3846, v32
	v_add_f16_e32 v31, v9, v24
	v_add_f16_sdwa v24, v16, v24 dst_sel:DWORD dst_unused:UNUSED_PAD src0_sel:DWORD src1_sel:WORD_1
	v_sub_f16_e32 v10, v10, v19
	v_sub_f16_e32 v5, v6, v5
	v_fma_f16 v19, v15, s4, -v29
	v_mul_f16_e32 v15, 0xbb00, v15
	v_mul_f16_e32 v27, 0x3a52, v27
	v_fma_f16 v32, v26, s2, v25
	v_fma_f16 v16, v16, s0, v24
	v_lshlrev_b32_e32 v24, 16, v24
	v_fma_f16 v9, v9, s0, v31
	v_fma_f16 v33, v8, s1, v29
	v_sub_f16_e32 v17, v17, v22
	v_mul_f16_e32 v6, 0x2b26, v26
	v_mul_f16_e32 v18, 0x2b26, v28
	v_fma_f16 v8, v8, s5, -v15
	v_fma_f16 v15, v5, s4, -v30
	v_mul_f16_e32 v5, 0xbb00, v5
	v_or_b32_e32 v24, v24, v31
	v_add_f16_e32 v31, v32, v9
	v_fma_f16 v32, v28, s2, v27
	v_fma_f16 v6, v10, s6, -v6
	v_fma_f16 v10, v10, s7, -v25
	;; [unrolled: 1-line block ×5, first 2 shown]
	v_add_f16_e32 v32, v32, v16
	v_fma_f16 v34, v7, s1, v30
	v_add_f16_e32 v6, v6, v9
	v_add_f16_e32 v7, v10, v9
	;; [unrolled: 1-line block ×4, first 2 shown]
	v_fma_f16 v16, v21, s3, v19
	v_fma_f16 v8, v21, s3, v8
	;; [unrolled: 1-line block ×6, first 2 shown]
	v_sub_f16_e32 v17, v6, v15
	v_add_f16_e32 v6, v15, v6
	v_add_f16_e32 v15, v16, v9
	v_sub_f16_e32 v9, v9, v16
	v_add_f16_e32 v16, v5, v7
	v_sub_f16_e32 v5, v7, v5
	v_sub_f16_e32 v7, v10, v8
	v_add_f16_e32 v8, v8, v10
	v_sub_f16_e32 v10, v31, v34
	v_add_f16_e32 v18, v33, v32
	v_pack_b32_f16 v6, v6, v9
	v_pack_b32_f16 v5, v5, v8
	v_add_f16_e32 v35, v34, v31
	v_sub_f16_e32 v36, v32, v33
	ds_write2_b32 v14, v6, v5 offset0:16 offset1:20
	v_pack_b32_f16 v5, v10, v18
	v_pack_b32_f16 v35, v35, v36
	;; [unrolled: 1-line block ×4, first 2 shown]
	ds_write_b32 v14, v5 offset:96
	v_mul_u32_u24_e32 v5, 6, v0
	ds_write2_b32 v14, v24, v35 offset1:4
	ds_write2_b32 v14, v7, v15 offset0:8 offset1:12
	v_lshlrev_b32_e32 v14, 2, v5
	s_waitcnt lgkmcnt(0)
	; wave barrier
	s_waitcnt lgkmcnt(0)
	global_load_dwordx4 v[5:8], v14, s[8:9] offset:96
	global_load_dwordx2 v[9:10], v14, s[8:9] offset:112
	ds_read2_b32 v[14:15], v1 offset0:56 offset1:84
	ds_read_b32 v18, v20
	ds_read2_b32 v[16:17], v1 offset0:112 offset1:140
	ds_read_b32 v21, v1 offset:672
	s_waitcnt lgkmcnt(3)
	v_lshrrev_b32_e32 v19, 16, v14
	v_lshrrev_b32_e32 v20, 16, v15
	s_waitcnt lgkmcnt(2)
	v_lshrrev_b32_e32 v22, 16, v18
	s_waitcnt vmcnt(1)
	v_mul_f16_sdwa v23, v6, v19 dst_sel:DWORD dst_unused:UNUSED_PAD src0_sel:WORD_1 src1_sel:DWORD
	v_mul_f16_sdwa v24, v7, v20 dst_sel:DWORD dst_unused:UNUSED_PAD src0_sel:WORD_1 src1_sel:DWORD
	;; [unrolled: 1-line block ×4, first 2 shown]
	v_fma_f16 v14, v6, v14, v23
	v_fma_f16 v15, v7, v15, v24
	v_fma_f16 v6, v6, v19, -v25
	v_fma_f16 v7, v7, v20, -v26
	s_waitcnt lgkmcnt(1)
	v_lshrrev_b32_e32 v19, 16, v16
	v_mul_f16_sdwa v20, v8, v16 dst_sel:DWORD dst_unused:UNUSED_PAD src0_sel:WORD_1 src1_sel:DWORD
	v_fma_f16 v20, v8, v19, -v20
	v_mul_f16_sdwa v19, v8, v19 dst_sel:DWORD dst_unused:UNUSED_PAD src0_sel:WORD_1 src1_sel:DWORD
	v_fma_f16 v8, v8, v16, v19
	v_lshrrev_b32_e32 v16, 16, v17
	s_waitcnt vmcnt(0)
	v_mul_f16_sdwa v19, v9, v16 dst_sel:DWORD dst_unused:UNUSED_PAD src0_sel:WORD_1 src1_sel:DWORD
	v_fma_f16 v19, v9, v17, v19
	v_mul_f16_sdwa v17, v9, v17 dst_sel:DWORD dst_unused:UNUSED_PAD src0_sel:WORD_1 src1_sel:DWORD
	v_mul_f16_sdwa v27, v5, v22 dst_sel:DWORD dst_unused:UNUSED_PAD src0_sel:WORD_1 src1_sel:DWORD
	v_mul_f16_sdwa v28, v5, v18 dst_sel:DWORD dst_unused:UNUSED_PAD src0_sel:WORD_1 src1_sel:DWORD
	v_fma_f16 v9, v9, v16, -v17
	ds_read_b32 v16, v11
	s_waitcnt lgkmcnt(1)
	v_lshrrev_b32_e32 v17, 16, v21
	v_fma_f16 v18, v5, v18, v27
	v_fma_f16 v5, v5, v22, -v28
	v_mul_f16_sdwa v22, v10, v17 dst_sel:DWORD dst_unused:UNUSED_PAD src0_sel:WORD_1 src1_sel:DWORD
	v_fma_f16 v22, v10, v21, v22
	v_mul_f16_sdwa v21, v10, v21 dst_sel:DWORD dst_unused:UNUSED_PAD src0_sel:WORD_1 src1_sel:DWORD
	v_fma_f16 v10, v10, v17, -v21
	v_add_f16_e32 v17, v18, v22
	v_add_f16_e32 v21, v5, v10
	v_sub_f16_e32 v5, v5, v10
	v_add_f16_e32 v10, v14, v19
	v_sub_f16_e32 v14, v14, v19
	;; [unrolled: 2-line block ×6, first 2 shown]
	v_sub_f16_e32 v22, v10, v17
	v_sub_f16_e32 v17, v17, v9
	v_sub_f16_e32 v10, v9, v10
	v_add_f16_e32 v9, v9, v20
	v_add_f16_e32 v20, v19, v21
	v_sub_f16_e32 v23, v19, v21
	v_sub_f16_e32 v21, v21, v15
	v_sub_f16_e32 v19, v15, v19
	v_add_f16_e32 v15, v15, v20
	v_add_f16_e32 v20, v8, v14
	;; [unrolled: 5-line block ×3, first 2 shown]
	v_sub_f16_e32 v25, v7, v6
	v_sub_f16_e32 v7, v5, v7
	v_sub_f16_e32 v6, v6, v5
	v_add_f16_e32 v5, v20, v5
	s_waitcnt lgkmcnt(0)
	v_add_f16_e32 v20, v9, v16
	v_add_f16_sdwa v16, v15, v16 dst_sel:DWORD dst_unused:UNUSED_PAD src0_sel:DWORD src1_sel:WORD_1
	v_lshlrev_b32_e32 v26, 16, v16
	v_or_b32_e32 v26, v26, v20
	v_fma_f16 v9, v9, s0, v20
	v_fma_f16 v15, v15, s0, v16
	v_mul_f16_e32 v16, 0x3a52, v17
	v_mul_f16_e32 v17, 0x2b26, v10
	;; [unrolled: 1-line block ×4, first 2 shown]
	v_fma_f16 v10, v10, s2, v16
	v_fma_f16 v17, v22, s6, -v17
	v_fma_f16 v16, v22, s7, -v16
	v_fma_f16 v19, v19, s2, v20
	v_fma_f16 v21, v23, s6, -v21
	v_fma_f16 v20, v23, s7, -v20
	v_mul_f16_e32 v22, 0x3846, v24
	v_mul_f16_e32 v23, 0xbb00, v14
	v_fma_f16 v14, v14, s4, -v22
	v_fma_f16 v22, v8, s1, v22
	v_fma_f16 v8, v8, s5, -v23
	v_mul_f16_e32 v23, 0x3846, v25
	v_mul_f16_e32 v24, 0xbb00, v6
	v_fma_f16 v6, v6, s4, -v23
	v_fma_f16 v23, v7, s1, v23
	v_fma_f16 v7, v7, s5, -v24
	v_add_f16_e32 v10, v10, v9
	v_add_f16_e32 v17, v17, v9
	;; [unrolled: 1-line block ×6, first 2 shown]
	v_fma_f16 v20, v18, s3, v22
	v_fma_f16 v14, v18, s3, v14
	;; [unrolled: 1-line block ×6, first 2 shown]
	v_sub_f16_e32 v7, v17, v6
	v_add_f16_e32 v6, v6, v17
	v_add_f16_e32 v17, v14, v19
	v_sub_f16_e32 v14, v19, v14
	v_add_f16_e32 v19, v5, v9
	v_sub_f16_e32 v5, v9, v5
	v_sub_f16_e32 v9, v15, v8
	v_add_f16_e32 v8, v8, v15
	v_add_f16_e32 v15, v18, v10
	v_sub_f16_e32 v10, v10, v18
	v_sub_f16_e32 v18, v16, v20
	v_add_f16_e32 v16, v20, v16
	v_pack_b32_f16 v6, v6, v14
	v_pack_b32_f16 v5, v5, v8
	;; [unrolled: 1-line block ×3, first 2 shown]
	s_waitcnt lgkmcnt(0)
	; wave barrier
	v_pack_b32_f16 v9, v19, v9
	v_pack_b32_f16 v7, v7, v17
	ds_write2_b32 v1, v6, v5 offset0:112 offset1:140
	v_pack_b32_f16 v5, v10, v16
	ds_write2_b32 v1, v26, v15 offset1:28
	ds_write2_b32 v1, v9, v7 offset0:56 offset1:84
	ds_write_b32 v1, v5 offset:672
	s_waitcnt lgkmcnt(0)
	; wave barrier
	s_waitcnt lgkmcnt(0)
	ds_read_b32 v5, v11
	v_sub_u32_e32 v9, v12, v13
	v_cmp_ne_u32_e64 s[0:1], 0, v0
                                        ; implicit-def: $vgpr14
                                        ; implicit-def: $vgpr10
                                        ; implicit-def: $vgpr13
                                        ; implicit-def: $vgpr6_vgpr7
	s_and_saveexec_b64 s[2:3], s[0:1]
	s_xor_b64 s[2:3], exec, s[2:3]
	s_cbranch_execz .LBB0_17
; %bb.16:
	v_mov_b32_e32 v1, 0
	v_lshlrev_b64 v[6:7], 2, v[0:1]
	v_mov_b32_e32 v8, s9
	v_add_co_u32_e64 v6, s[0:1], s8, v6
	v_addc_co_u32_e64 v7, s[0:1], v8, v7, s[0:1]
	global_load_dword v6, v[6:7], off offset:768
	ds_read_b32 v7, v9 offset:784
	s_waitcnt lgkmcnt(0)
	v_add_f16_sdwa v10, v7, v5 dst_sel:DWORD dst_unused:UNUSED_PAD src0_sel:WORD_1 src1_sel:WORD_1
	v_sub_f16_e32 v13, v5, v7
	v_add_f16_e32 v8, v7, v5
	v_sub_f16_sdwa v5, v5, v7 dst_sel:DWORD dst_unused:UNUSED_PAD src0_sel:WORD_1 src1_sel:WORD_1
	v_mul_f16_e32 v7, 0.5, v10
	v_mul_f16_e32 v10, 0.5, v13
	;; [unrolled: 1-line block ×3, first 2 shown]
	s_waitcnt vmcnt(0)
	v_lshrrev_b32_e32 v13, 16, v6
	v_mul_f16_e32 v14, v13, v10
	v_fma_f16 v15, v7, v13, v5
	v_fma_f16 v5, v7, v13, -v5
	v_fma_f16 v16, v8, 0.5, v14
	v_fma_f16 v8, v8, 0.5, -v14
	v_fma_f16 v13, -v6, v10, v15
	v_fma_f16 v14, -v6, v10, v5
	v_fma_f16 v5, v6, v7, v16
	v_fma_f16 v10, -v6, v7, v8
	v_mov_b32_e32 v7, v1
	ds_write_b16 v11, v5
	v_mov_b32_e32 v6, v0
                                        ; implicit-def: $vgpr5
.LBB0_17:
	s_andn2_saveexec_b64 s[0:1], s[2:3]
	s_cbranch_execz .LBB0_19
; %bb.18:
	ds_read_u16 v1, v12 offset:394
	v_mov_b32_e32 v6, 0
	s_waitcnt lgkmcnt(1)
	v_add_f16_sdwa v8, v5, v5 dst_sel:DWORD dst_unused:UNUSED_PAD src0_sel:WORD_1 src1_sel:DWORD
	v_sub_f16_sdwa v10, v5, v5 dst_sel:DWORD dst_unused:UNUSED_PAD src0_sel:DWORD src1_sel:WORD_1
	v_mov_b32_e32 v7, 0
	s_waitcnt lgkmcnt(0)
	v_xor_b32_e32 v1, 0x8000, v1
	v_mov_b32_e32 v13, 0
	v_mov_b32_e32 v14, 0
	ds_write_b16 v11, v8
	ds_write_b16 v12, v1 offset:394
.LBB0_19:
	s_or_b64 exec, exec, s[0:1]
	s_waitcnt lgkmcnt(0)
	v_mov_b32_e32 v5, 0
	v_lshlrev_b64 v[15:16], 2, v[4:5]
	v_mov_b32_e32 v1, s9
	v_add_co_u32_e64 v15, s[0:1], s8, v15
	v_addc_co_u32_e64 v16, s[0:1], v1, v16, s[0:1]
	global_load_dword v1, v[15:16], off offset:768
	s_add_u32 s0, s8, 0x300
	v_lshlrev_b64 v[5:6], 2, v[6:7]
	s_addc_u32 s1, s9, 0
	v_mov_b32_e32 v8, s1
	v_add_co_u32_e64 v7, s[0:1], s0, v5
	v_addc_co_u32_e64 v8, s[0:1], v8, v6, s[0:1]
	global_load_dword v15, v[7:8], off offset:224
	s_mov_b32 s0, 0x5040100
	v_perm_b32 v10, v14, v10, s0
	ds_write_b16 v11, v13 offset:2
	v_lshl_add_u32 v4, v4, 2, v12
	ds_write_b32 v9, v10 offset:784
	ds_read_b32 v12, v9 offset:672
	ds_read_b32 v10, v4
	s_mov_b32 s4, 0xffff
	v_cmp_gt_u32_e64 s[0:1], 14, v0
	s_waitcnt lgkmcnt(0)
	v_pk_add_f16 v13, v10, v12 neg_lo:[0,1] neg_hi:[0,1]
	v_pk_add_f16 v10, v10, v12
	v_bfi_b32 v12, s4, v13, v10
	v_bfi_b32 v10, s4, v10, v13
	v_pk_mul_f16 v12, v12, 0.5 op_sel_hi:[1,0]
	v_pk_mul_f16 v10, v10, 0.5 op_sel_hi:[1,0]
	s_waitcnt vmcnt(1)
	v_pk_fma_f16 v13, v1, v12, v10 op_sel:[1,0,0]
	v_pk_mul_f16 v14, v1, v12 op_sel_hi:[0,1]
	v_pk_fma_f16 v16, v1, v12, v10 op_sel:[1,0,0] neg_lo:[1,0,0] neg_hi:[1,0,0]
	v_pk_fma_f16 v1, v1, v12, v10 op_sel:[1,0,0] neg_lo:[0,0,1] neg_hi:[0,0,1]
	v_pk_add_f16 v10, v13, v14 op_sel:[0,1] op_sel_hi:[1,0]
	v_pk_add_f16 v12, v13, v14 op_sel:[0,1] op_sel_hi:[1,0] neg_lo:[0,1] neg_hi:[0,1]
	v_pk_add_f16 v13, v16, v14 op_sel:[0,1] op_sel_hi:[1,0] neg_lo:[0,1] neg_hi:[0,1]
	;; [unrolled: 1-line block ×3, first 2 shown]
	v_bfi_b32 v10, s4, v10, v12
	v_bfi_b32 v1, s4, v13, v1
	ds_write_b32 v4, v10
	ds_write_b32 v9, v1 offset:672
	ds_read_b32 v1, v11 offset:224
	ds_read_b32 v4, v9 offset:560
	s_waitcnt lgkmcnt(0)
	v_pk_add_f16 v10, v1, v4 neg_lo:[0,1] neg_hi:[0,1]
	v_pk_add_f16 v1, v1, v4
	v_bfi_b32 v4, s4, v10, v1
	v_bfi_b32 v1, s4, v1, v10
	v_pk_mul_f16 v4, v4, 0.5 op_sel_hi:[1,0]
	v_pk_mul_f16 v1, v1, 0.5 op_sel_hi:[1,0]
	s_waitcnt vmcnt(0)
	v_pk_fma_f16 v10, v15, v4, v1 op_sel:[1,0,0]
	v_pk_mul_f16 v12, v15, v4 op_sel_hi:[0,1]
	v_pk_fma_f16 v13, v15, v4, v1 op_sel:[1,0,0] neg_lo:[1,0,0] neg_hi:[1,0,0]
	v_pk_fma_f16 v1, v15, v4, v1 op_sel:[1,0,0] neg_lo:[0,0,1] neg_hi:[0,0,1]
	v_pk_add_f16 v4, v10, v12 op_sel:[0,1] op_sel_hi:[1,0]
	v_pk_add_f16 v10, v10, v12 op_sel:[0,1] op_sel_hi:[1,0] neg_lo:[0,1] neg_hi:[0,1]
	v_pk_add_f16 v13, v13, v12 op_sel:[0,1] op_sel_hi:[1,0] neg_lo:[0,1] neg_hi:[0,1]
	v_pk_add_f16 v1, v1, v12 op_sel:[0,1] op_sel_hi:[1,0] neg_lo:[0,1] neg_hi:[0,1]
	v_bfi_b32 v4, s4, v4, v10
	v_bfi_b32 v1, s4, v13, v1
	ds_write_b32 v11, v4 offset:224
	ds_write_b32 v9, v1 offset:560
	s_and_saveexec_b64 s[2:3], s[0:1]
	s_cbranch_execz .LBB0_21
; %bb.20:
	global_load_dword v1, v[7:8], off offset:336
	ds_read_b32 v4, v11 offset:336
	ds_read_b32 v7, v9 offset:448
	s_waitcnt lgkmcnt(0)
	v_pk_add_f16 v8, v4, v7 neg_lo:[0,1] neg_hi:[0,1]
	v_pk_add_f16 v4, v4, v7
	v_bfi_b32 v7, s4, v8, v4
	v_bfi_b32 v4, s4, v4, v8
	v_pk_mul_f16 v7, v7, 0.5 op_sel_hi:[1,0]
	v_pk_mul_f16 v4, v4, 0.5 op_sel_hi:[1,0]
	s_waitcnt vmcnt(0)
	v_pk_fma_f16 v8, v1, v7, v4 op_sel:[1,0,0]
	v_pk_mul_f16 v10, v1, v7 op_sel_hi:[0,1]
	v_pk_fma_f16 v12, v1, v7, v4 op_sel:[1,0,0] neg_lo:[1,0,0] neg_hi:[1,0,0]
	v_pk_fma_f16 v1, v1, v7, v4 op_sel:[1,0,0] neg_lo:[0,0,1] neg_hi:[0,0,1]
	v_pk_add_f16 v4, v8, v10 op_sel:[0,1] op_sel_hi:[1,0]
	v_pk_add_f16 v7, v8, v10 op_sel:[0,1] op_sel_hi:[1,0] neg_lo:[0,1] neg_hi:[0,1]
	v_pk_add_f16 v8, v12, v10 op_sel:[0,1] op_sel_hi:[1,0] neg_lo:[0,1] neg_hi:[0,1]
	;; [unrolled: 1-line block ×3, first 2 shown]
	v_bfi_b32 v4, s4, v4, v7
	v_bfi_b32 v1, s4, v8, v1
	ds_write_b32 v11, v4 offset:336
	ds_write_b32 v9, v1 offset:448
.LBB0_21:
	s_or_b64 exec, exec, s[2:3]
	s_waitcnt lgkmcnt(0)
	; wave barrier
	s_waitcnt lgkmcnt(0)
	s_and_saveexec_b64 s[0:1], vcc
	s_cbranch_execz .LBB0_24
; %bb.22:
	v_mov_b32_e32 v4, s13
	v_add_co_u32_e32 v1, vcc, s12, v2
	v_addc_co_u32_e32 v2, vcc, v4, v3, vcc
	ds_read2_b32 v[7:8], v11 offset1:28
	v_add_co_u32_e32 v3, vcc, v1, v5
	v_addc_co_u32_e32 v4, vcc, v2, v6, vcc
	ds_read2_b32 v[5:6], v11 offset0:56 offset1:84
	ds_read2_b32 v[9:10], v11 offset0:112 offset1:140
	s_waitcnt lgkmcnt(2)
	global_store_dword v[3:4], v7, off
	ds_read_b32 v7, v11 offset:672
	v_cmp_eq_u32_e32 vcc, 27, v0
	global_store_dword v[3:4], v8, off offset:112
	s_waitcnt lgkmcnt(2)
	global_store_dword v[3:4], v5, off offset:224
	global_store_dword v[3:4], v6, off offset:336
	s_waitcnt lgkmcnt(1)
	global_store_dword v[3:4], v9, off offset:448
	global_store_dword v[3:4], v10, off offset:560
	s_waitcnt lgkmcnt(0)
	global_store_dword v[3:4], v7, off offset:672
	s_and_b64 exec, exec, vcc
	s_cbranch_execz .LBB0_24
; %bb.23:
	ds_read_b32 v0, v11 offset:676
	s_waitcnt lgkmcnt(0)
	global_store_dword v[1:2], v0, off offset:784
.LBB0_24:
	s_endpgm
	.section	.rodata,"a",@progbits
	.p2align	6, 0x0
	.amdhsa_kernel fft_rtc_back_len196_factors_4_7_7_wgs_56_tpt_28_half_ip_CI_unitstride_sbrr_R2C_dirReg
		.amdhsa_group_segment_fixed_size 0
		.amdhsa_private_segment_fixed_size 0
		.amdhsa_kernarg_size 88
		.amdhsa_user_sgpr_count 6
		.amdhsa_user_sgpr_private_segment_buffer 1
		.amdhsa_user_sgpr_dispatch_ptr 0
		.amdhsa_user_sgpr_queue_ptr 0
		.amdhsa_user_sgpr_kernarg_segment_ptr 1
		.amdhsa_user_sgpr_dispatch_id 0
		.amdhsa_user_sgpr_flat_scratch_init 0
		.amdhsa_user_sgpr_private_segment_size 0
		.amdhsa_uses_dynamic_stack 0
		.amdhsa_system_sgpr_private_segment_wavefront_offset 0
		.amdhsa_system_sgpr_workgroup_id_x 1
		.amdhsa_system_sgpr_workgroup_id_y 0
		.amdhsa_system_sgpr_workgroup_id_z 0
		.amdhsa_system_sgpr_workgroup_info 0
		.amdhsa_system_vgpr_workitem_id 0
		.amdhsa_next_free_vgpr 37
		.amdhsa_next_free_sgpr 22
		.amdhsa_reserve_vcc 1
		.amdhsa_reserve_flat_scratch 0
		.amdhsa_float_round_mode_32 0
		.amdhsa_float_round_mode_16_64 0
		.amdhsa_float_denorm_mode_32 3
		.amdhsa_float_denorm_mode_16_64 3
		.amdhsa_dx10_clamp 1
		.amdhsa_ieee_mode 1
		.amdhsa_fp16_overflow 0
		.amdhsa_exception_fp_ieee_invalid_op 0
		.amdhsa_exception_fp_denorm_src 0
		.amdhsa_exception_fp_ieee_div_zero 0
		.amdhsa_exception_fp_ieee_overflow 0
		.amdhsa_exception_fp_ieee_underflow 0
		.amdhsa_exception_fp_ieee_inexact 0
		.amdhsa_exception_int_div_zero 0
	.end_amdhsa_kernel
	.text
.Lfunc_end0:
	.size	fft_rtc_back_len196_factors_4_7_7_wgs_56_tpt_28_half_ip_CI_unitstride_sbrr_R2C_dirReg, .Lfunc_end0-fft_rtc_back_len196_factors_4_7_7_wgs_56_tpt_28_half_ip_CI_unitstride_sbrr_R2C_dirReg
                                        ; -- End function
	.section	.AMDGPU.csdata,"",@progbits
; Kernel info:
; codeLenInByte = 4648
; NumSgprs: 26
; NumVgprs: 37
; ScratchSize: 0
; MemoryBound: 0
; FloatMode: 240
; IeeeMode: 1
; LDSByteSize: 0 bytes/workgroup (compile time only)
; SGPRBlocks: 3
; VGPRBlocks: 9
; NumSGPRsForWavesPerEU: 26
; NumVGPRsForWavesPerEU: 37
; Occupancy: 6
; WaveLimiterHint : 1
; COMPUTE_PGM_RSRC2:SCRATCH_EN: 0
; COMPUTE_PGM_RSRC2:USER_SGPR: 6
; COMPUTE_PGM_RSRC2:TRAP_HANDLER: 0
; COMPUTE_PGM_RSRC2:TGID_X_EN: 1
; COMPUTE_PGM_RSRC2:TGID_Y_EN: 0
; COMPUTE_PGM_RSRC2:TGID_Z_EN: 0
; COMPUTE_PGM_RSRC2:TIDIG_COMP_CNT: 0
	.type	__hip_cuid_13887d4342e0cfa,@object ; @__hip_cuid_13887d4342e0cfa
	.section	.bss,"aw",@nobits
	.globl	__hip_cuid_13887d4342e0cfa
__hip_cuid_13887d4342e0cfa:
	.byte	0                               ; 0x0
	.size	__hip_cuid_13887d4342e0cfa, 1

	.ident	"AMD clang version 19.0.0git (https://github.com/RadeonOpenCompute/llvm-project roc-6.4.0 25133 c7fe45cf4b819c5991fe208aaa96edf142730f1d)"
	.section	".note.GNU-stack","",@progbits
	.addrsig
	.addrsig_sym __hip_cuid_13887d4342e0cfa
	.amdgpu_metadata
---
amdhsa.kernels:
  - .args:
      - .actual_access:  read_only
        .address_space:  global
        .offset:         0
        .size:           8
        .value_kind:     global_buffer
      - .offset:         8
        .size:           8
        .value_kind:     by_value
      - .actual_access:  read_only
        .address_space:  global
        .offset:         16
        .size:           8
        .value_kind:     global_buffer
      - .actual_access:  read_only
        .address_space:  global
        .offset:         24
        .size:           8
        .value_kind:     global_buffer
      - .offset:         32
        .size:           8
        .value_kind:     by_value
      - .actual_access:  read_only
        .address_space:  global
        .offset:         40
        .size:           8
        .value_kind:     global_buffer
      - .actual_access:  read_only
        .address_space:  global
        .offset:         48
        .size:           8
        .value_kind:     global_buffer
      - .offset:         56
        .size:           4
        .value_kind:     by_value
      - .actual_access:  read_only
        .address_space:  global
        .offset:         64
        .size:           8
        .value_kind:     global_buffer
      - .actual_access:  read_only
        .address_space:  global
        .offset:         72
        .size:           8
        .value_kind:     global_buffer
      - .address_space:  global
        .offset:         80
        .size:           8
        .value_kind:     global_buffer
    .group_segment_fixed_size: 0
    .kernarg_segment_align: 8
    .kernarg_segment_size: 88
    .language:       OpenCL C
    .language_version:
      - 2
      - 0
    .max_flat_workgroup_size: 56
    .name:           fft_rtc_back_len196_factors_4_7_7_wgs_56_tpt_28_half_ip_CI_unitstride_sbrr_R2C_dirReg
    .private_segment_fixed_size: 0
    .sgpr_count:     26
    .sgpr_spill_count: 0
    .symbol:         fft_rtc_back_len196_factors_4_7_7_wgs_56_tpt_28_half_ip_CI_unitstride_sbrr_R2C_dirReg.kd
    .uniform_work_group_size: 1
    .uses_dynamic_stack: false
    .vgpr_count:     37
    .vgpr_spill_count: 0
    .wavefront_size: 64
amdhsa.target:   amdgcn-amd-amdhsa--gfx906
amdhsa.version:
  - 1
  - 2
...

	.end_amdgpu_metadata
